;; amdgpu-corpus repo=ROCm/rocFFT kind=compiled arch=gfx1100 opt=O3
	.text
	.amdgcn_target "amdgcn-amd-amdhsa--gfx1100"
	.amdhsa_code_object_version 6
	.protected	fft_rtc_back_len378_factors_6_3_3_7_wgs_126_tpt_126_dp_ip_CI_sbrr_dirReg ; -- Begin function fft_rtc_back_len378_factors_6_3_3_7_wgs_126_tpt_126_dp_ip_CI_sbrr_dirReg
	.globl	fft_rtc_back_len378_factors_6_3_3_7_wgs_126_tpt_126_dp_ip_CI_sbrr_dirReg
	.p2align	8
	.type	fft_rtc_back_len378_factors_6_3_3_7_wgs_126_tpt_126_dp_ip_CI_sbrr_dirReg,@function
fft_rtc_back_len378_factors_6_3_3_7_wgs_126_tpt_126_dp_ip_CI_sbrr_dirReg: ; @fft_rtc_back_len378_factors_6_3_3_7_wgs_126_tpt_126_dp_ip_CI_sbrr_dirReg
; %bb.0:
	s_clause 0x2
	s_load_b64 s[12:13], s[0:1], 0x18
	s_load_b128 s[4:7], s[0:1], 0x0
	s_load_b64 s[8:9], s[0:1], 0x50
	v_mul_u32_u24_e32 v1, 0x209, v0
	v_mov_b32_e32 v3, 0
	v_mov_b32_e32 v4, 0
	s_delay_alu instid0(VALU_DEP_3) | instskip(SKIP_1) | instid1(VALU_DEP_1)
	v_lshrrev_b32_e32 v2, 16, v1
	v_mov_b32_e32 v1, 0
	v_dual_mov_b32 v6, v1 :: v_dual_add_nc_u32 v5, s15, v2
	s_waitcnt lgkmcnt(0)
	s_load_b64 s[10:11], s[12:13], 0x0
	v_cmp_lt_u64_e64 s2, s[6:7], 2
	s_delay_alu instid0(VALU_DEP_1)
	s_and_b32 vcc_lo, exec_lo, s2
	s_cbranch_vccnz .LBB0_8
; %bb.1:
	s_load_b64 s[2:3], s[0:1], 0x10
	v_mov_b32_e32 v3, 0
	s_add_u32 s14, s12, 8
	v_mov_b32_e32 v4, 0
	s_addc_u32 s15, s13, 0
	s_mov_b64 s[18:19], 1
	s_waitcnt lgkmcnt(0)
	s_add_u32 s16, s2, 8
	s_addc_u32 s17, s3, 0
.LBB0_2:                                ; =>This Inner Loop Header: Depth=1
	s_load_b64 s[20:21], s[16:17], 0x0
                                        ; implicit-def: $vgpr7_vgpr8
	s_mov_b32 s2, exec_lo
	s_waitcnt lgkmcnt(0)
	v_or_b32_e32 v2, s21, v6
	s_delay_alu instid0(VALU_DEP_1)
	v_cmpx_ne_u64_e32 0, v[1:2]
	s_xor_b32 s3, exec_lo, s2
	s_cbranch_execz .LBB0_4
; %bb.3:                                ;   in Loop: Header=BB0_2 Depth=1
	v_cvt_f32_u32_e32 v2, s20
	v_cvt_f32_u32_e32 v7, s21
	s_sub_u32 s2, 0, s20
	s_subb_u32 s22, 0, s21
	s_delay_alu instid0(VALU_DEP_1) | instskip(NEXT) | instid1(VALU_DEP_1)
	v_fmac_f32_e32 v2, 0x4f800000, v7
	v_rcp_f32_e32 v2, v2
	s_waitcnt_depctr 0xfff
	v_mul_f32_e32 v2, 0x5f7ffffc, v2
	s_delay_alu instid0(VALU_DEP_1) | instskip(NEXT) | instid1(VALU_DEP_1)
	v_mul_f32_e32 v7, 0x2f800000, v2
	v_trunc_f32_e32 v7, v7
	s_delay_alu instid0(VALU_DEP_1) | instskip(SKIP_1) | instid1(VALU_DEP_2)
	v_fmac_f32_e32 v2, 0xcf800000, v7
	v_cvt_u32_f32_e32 v7, v7
	v_cvt_u32_f32_e32 v2, v2
	s_delay_alu instid0(VALU_DEP_2) | instskip(NEXT) | instid1(VALU_DEP_2)
	v_mul_lo_u32 v8, s2, v7
	v_mul_hi_u32 v9, s2, v2
	v_mul_lo_u32 v10, s22, v2
	s_delay_alu instid0(VALU_DEP_2) | instskip(SKIP_1) | instid1(VALU_DEP_2)
	v_add_nc_u32_e32 v8, v9, v8
	v_mul_lo_u32 v9, s2, v2
	v_add_nc_u32_e32 v8, v8, v10
	s_delay_alu instid0(VALU_DEP_2) | instskip(NEXT) | instid1(VALU_DEP_2)
	v_mul_hi_u32 v10, v2, v9
	v_mul_lo_u32 v11, v2, v8
	v_mul_hi_u32 v12, v2, v8
	v_mul_hi_u32 v13, v7, v9
	v_mul_lo_u32 v9, v7, v9
	v_mul_hi_u32 v14, v7, v8
	v_mul_lo_u32 v8, v7, v8
	v_add_co_u32 v10, vcc_lo, v10, v11
	v_add_co_ci_u32_e32 v11, vcc_lo, 0, v12, vcc_lo
	s_delay_alu instid0(VALU_DEP_2) | instskip(NEXT) | instid1(VALU_DEP_2)
	v_add_co_u32 v9, vcc_lo, v10, v9
	v_add_co_ci_u32_e32 v9, vcc_lo, v11, v13, vcc_lo
	v_add_co_ci_u32_e32 v10, vcc_lo, 0, v14, vcc_lo
	s_delay_alu instid0(VALU_DEP_2) | instskip(NEXT) | instid1(VALU_DEP_2)
	v_add_co_u32 v8, vcc_lo, v9, v8
	v_add_co_ci_u32_e32 v9, vcc_lo, 0, v10, vcc_lo
	s_delay_alu instid0(VALU_DEP_2) | instskip(NEXT) | instid1(VALU_DEP_2)
	v_add_co_u32 v2, vcc_lo, v2, v8
	v_add_co_ci_u32_e32 v7, vcc_lo, v7, v9, vcc_lo
	s_delay_alu instid0(VALU_DEP_2) | instskip(SKIP_1) | instid1(VALU_DEP_3)
	v_mul_hi_u32 v8, s2, v2
	v_mul_lo_u32 v10, s22, v2
	v_mul_lo_u32 v9, s2, v7
	s_delay_alu instid0(VALU_DEP_1) | instskip(SKIP_1) | instid1(VALU_DEP_2)
	v_add_nc_u32_e32 v8, v8, v9
	v_mul_lo_u32 v9, s2, v2
	v_add_nc_u32_e32 v8, v8, v10
	s_delay_alu instid0(VALU_DEP_2) | instskip(NEXT) | instid1(VALU_DEP_2)
	v_mul_hi_u32 v10, v2, v9
	v_mul_lo_u32 v11, v2, v8
	v_mul_hi_u32 v12, v2, v8
	v_mul_hi_u32 v13, v7, v9
	v_mul_lo_u32 v9, v7, v9
	v_mul_hi_u32 v14, v7, v8
	v_mul_lo_u32 v8, v7, v8
	v_add_co_u32 v10, vcc_lo, v10, v11
	v_add_co_ci_u32_e32 v11, vcc_lo, 0, v12, vcc_lo
	s_delay_alu instid0(VALU_DEP_2) | instskip(NEXT) | instid1(VALU_DEP_2)
	v_add_co_u32 v9, vcc_lo, v10, v9
	v_add_co_ci_u32_e32 v9, vcc_lo, v11, v13, vcc_lo
	v_add_co_ci_u32_e32 v10, vcc_lo, 0, v14, vcc_lo
	s_delay_alu instid0(VALU_DEP_2) | instskip(NEXT) | instid1(VALU_DEP_2)
	v_add_co_u32 v8, vcc_lo, v9, v8
	v_add_co_ci_u32_e32 v9, vcc_lo, 0, v10, vcc_lo
	s_delay_alu instid0(VALU_DEP_2) | instskip(NEXT) | instid1(VALU_DEP_2)
	v_add_co_u32 v2, vcc_lo, v2, v8
	v_add_co_ci_u32_e32 v13, vcc_lo, v7, v9, vcc_lo
	s_delay_alu instid0(VALU_DEP_2) | instskip(SKIP_1) | instid1(VALU_DEP_3)
	v_mul_hi_u32 v14, v5, v2
	v_mad_u64_u32 v[9:10], null, v6, v2, 0
	v_mad_u64_u32 v[7:8], null, v5, v13, 0
	;; [unrolled: 1-line block ×3, first 2 shown]
	s_delay_alu instid0(VALU_DEP_2) | instskip(NEXT) | instid1(VALU_DEP_3)
	v_add_co_u32 v2, vcc_lo, v14, v7
	v_add_co_ci_u32_e32 v7, vcc_lo, 0, v8, vcc_lo
	s_delay_alu instid0(VALU_DEP_2) | instskip(NEXT) | instid1(VALU_DEP_2)
	v_add_co_u32 v2, vcc_lo, v2, v9
	v_add_co_ci_u32_e32 v2, vcc_lo, v7, v10, vcc_lo
	v_add_co_ci_u32_e32 v7, vcc_lo, 0, v12, vcc_lo
	s_delay_alu instid0(VALU_DEP_2) | instskip(NEXT) | instid1(VALU_DEP_2)
	v_add_co_u32 v2, vcc_lo, v2, v11
	v_add_co_ci_u32_e32 v9, vcc_lo, 0, v7, vcc_lo
	s_delay_alu instid0(VALU_DEP_2) | instskip(SKIP_1) | instid1(VALU_DEP_3)
	v_mul_lo_u32 v10, s21, v2
	v_mad_u64_u32 v[7:8], null, s20, v2, 0
	v_mul_lo_u32 v11, s20, v9
	s_delay_alu instid0(VALU_DEP_2) | instskip(NEXT) | instid1(VALU_DEP_2)
	v_sub_co_u32 v7, vcc_lo, v5, v7
	v_add3_u32 v8, v8, v11, v10
	s_delay_alu instid0(VALU_DEP_1) | instskip(NEXT) | instid1(VALU_DEP_1)
	v_sub_nc_u32_e32 v10, v6, v8
	v_subrev_co_ci_u32_e64 v10, s2, s21, v10, vcc_lo
	v_add_co_u32 v11, s2, v2, 2
	s_delay_alu instid0(VALU_DEP_1) | instskip(SKIP_3) | instid1(VALU_DEP_3)
	v_add_co_ci_u32_e64 v12, s2, 0, v9, s2
	v_sub_co_u32 v13, s2, v7, s20
	v_sub_co_ci_u32_e32 v8, vcc_lo, v6, v8, vcc_lo
	v_subrev_co_ci_u32_e64 v10, s2, 0, v10, s2
	v_cmp_le_u32_e32 vcc_lo, s20, v13
	s_delay_alu instid0(VALU_DEP_3) | instskip(SKIP_1) | instid1(VALU_DEP_4)
	v_cmp_eq_u32_e64 s2, s21, v8
	v_cndmask_b32_e64 v13, 0, -1, vcc_lo
	v_cmp_le_u32_e32 vcc_lo, s21, v10
	v_cndmask_b32_e64 v14, 0, -1, vcc_lo
	v_cmp_le_u32_e32 vcc_lo, s20, v7
	;; [unrolled: 2-line block ×3, first 2 shown]
	v_cndmask_b32_e64 v15, 0, -1, vcc_lo
	v_cmp_eq_u32_e32 vcc_lo, s21, v10
	s_delay_alu instid0(VALU_DEP_2) | instskip(SKIP_3) | instid1(VALU_DEP_3)
	v_cndmask_b32_e64 v7, v15, v7, s2
	v_cndmask_b32_e32 v10, v14, v13, vcc_lo
	v_add_co_u32 v13, vcc_lo, v2, 1
	v_add_co_ci_u32_e32 v14, vcc_lo, 0, v9, vcc_lo
	v_cmp_ne_u32_e32 vcc_lo, 0, v10
	s_delay_alu instid0(VALU_DEP_2) | instskip(NEXT) | instid1(VALU_DEP_4)
	v_cndmask_b32_e32 v8, v14, v12, vcc_lo
	v_cndmask_b32_e32 v10, v13, v11, vcc_lo
	v_cmp_ne_u32_e32 vcc_lo, 0, v7
	s_delay_alu instid0(VALU_DEP_2)
	v_dual_cndmask_b32 v7, v2, v10 :: v_dual_cndmask_b32 v8, v9, v8
.LBB0_4:                                ;   in Loop: Header=BB0_2 Depth=1
	s_and_not1_saveexec_b32 s2, s3
	s_cbranch_execz .LBB0_6
; %bb.5:                                ;   in Loop: Header=BB0_2 Depth=1
	v_cvt_f32_u32_e32 v2, s20
	s_sub_i32 s3, 0, s20
	s_delay_alu instid0(VALU_DEP_1) | instskip(SKIP_2) | instid1(VALU_DEP_1)
	v_rcp_iflag_f32_e32 v2, v2
	s_waitcnt_depctr 0xfff
	v_mul_f32_e32 v2, 0x4f7ffffe, v2
	v_cvt_u32_f32_e32 v2, v2
	s_delay_alu instid0(VALU_DEP_1) | instskip(NEXT) | instid1(VALU_DEP_1)
	v_mul_lo_u32 v7, s3, v2
	v_mul_hi_u32 v7, v2, v7
	s_delay_alu instid0(VALU_DEP_1) | instskip(NEXT) | instid1(VALU_DEP_1)
	v_add_nc_u32_e32 v2, v2, v7
	v_mul_hi_u32 v2, v5, v2
	s_delay_alu instid0(VALU_DEP_1) | instskip(SKIP_1) | instid1(VALU_DEP_2)
	v_mul_lo_u32 v7, v2, s20
	v_add_nc_u32_e32 v8, 1, v2
	v_sub_nc_u32_e32 v7, v5, v7
	s_delay_alu instid0(VALU_DEP_1) | instskip(SKIP_1) | instid1(VALU_DEP_2)
	v_subrev_nc_u32_e32 v9, s20, v7
	v_cmp_le_u32_e32 vcc_lo, s20, v7
	v_dual_cndmask_b32 v7, v7, v9 :: v_dual_cndmask_b32 v2, v2, v8
	s_delay_alu instid0(VALU_DEP_1) | instskip(NEXT) | instid1(VALU_DEP_2)
	v_cmp_le_u32_e32 vcc_lo, s20, v7
	v_add_nc_u32_e32 v8, 1, v2
	s_delay_alu instid0(VALU_DEP_1)
	v_dual_cndmask_b32 v7, v2, v8 :: v_dual_mov_b32 v8, v1
.LBB0_6:                                ;   in Loop: Header=BB0_2 Depth=1
	s_or_b32 exec_lo, exec_lo, s2
	s_load_b64 s[2:3], s[14:15], 0x0
	s_delay_alu instid0(VALU_DEP_1) | instskip(NEXT) | instid1(VALU_DEP_2)
	v_mul_lo_u32 v2, v8, s20
	v_mul_lo_u32 v11, v7, s21
	v_mad_u64_u32 v[9:10], null, v7, s20, 0
	s_add_u32 s18, s18, 1
	s_addc_u32 s19, s19, 0
	s_add_u32 s14, s14, 8
	s_addc_u32 s15, s15, 0
	;; [unrolled: 2-line block ×3, first 2 shown]
	s_delay_alu instid0(VALU_DEP_1) | instskip(SKIP_1) | instid1(VALU_DEP_2)
	v_add3_u32 v2, v10, v11, v2
	v_sub_co_u32 v9, vcc_lo, v5, v9
	v_sub_co_ci_u32_e32 v2, vcc_lo, v6, v2, vcc_lo
	s_waitcnt lgkmcnt(0)
	s_delay_alu instid0(VALU_DEP_2) | instskip(NEXT) | instid1(VALU_DEP_2)
	v_mul_lo_u32 v10, s3, v9
	v_mul_lo_u32 v2, s2, v2
	v_mad_u64_u32 v[5:6], null, s2, v9, v[3:4]
	v_cmp_ge_u64_e64 s2, s[18:19], s[6:7]
	s_delay_alu instid0(VALU_DEP_1) | instskip(NEXT) | instid1(VALU_DEP_2)
	s_and_b32 vcc_lo, exec_lo, s2
	v_add3_u32 v4, v10, v6, v2
	s_delay_alu instid0(VALU_DEP_3)
	v_mov_b32_e32 v3, v5
	s_cbranch_vccnz .LBB0_9
; %bb.7:                                ;   in Loop: Header=BB0_2 Depth=1
	v_dual_mov_b32 v5, v7 :: v_dual_mov_b32 v6, v8
	s_branch .LBB0_2
.LBB0_8:
	v_dual_mov_b32 v8, v6 :: v_dual_mov_b32 v7, v5
.LBB0_9:
	s_lshl_b64 s[2:3], s[6:7], 3
	v_mul_hi_u32 v5, 0x2082083, v0
	s_add_u32 s2, s12, s2
	s_addc_u32 s3, s13, s3
                                        ; implicit-def: $vgpr18_vgpr19
                                        ; implicit-def: $vgpr10_vgpr11
                                        ; implicit-def: $vgpr22_vgpr23
                                        ; implicit-def: $vgpr14_vgpr15
	s_load_b64 s[2:3], s[2:3], 0x0
	s_load_b64 s[0:1], s[0:1], 0x20
	s_waitcnt lgkmcnt(0)
	v_mul_lo_u32 v6, s2, v8
	v_mul_lo_u32 v9, s3, v7
	v_mad_u64_u32 v[1:2], null, s2, v7, v[3:4]
	v_mul_u32_u24_e32 v3, 0x7e, v5
	v_cmp_gt_u64_e32 vcc_lo, s[0:1], v[7:8]
	s_delay_alu instid0(VALU_DEP_2) | instskip(NEXT) | instid1(VALU_DEP_4)
	v_sub_nc_u32_e32 v38, v0, v3
	v_add3_u32 v2, v9, v2, v6
                                        ; implicit-def: $vgpr6_vgpr7
	s_delay_alu instid0(VALU_DEP_2) | instskip(NEXT) | instid1(VALU_DEP_2)
	v_cmp_gt_u32_e64 s0, 63, v38
	v_lshlrev_b64 v[28:29], 4, v[1:2]
                                        ; implicit-def: $vgpr2_vgpr3
	s_delay_alu instid0(VALU_DEP_2) | instskip(NEXT) | instid1(SALU_CYCLE_1)
	s_and_b32 s1, vcc_lo, s0
	s_and_saveexec_b32 s2, s1
	s_cbranch_execz .LBB0_11
; %bb.10:
	v_add_nc_u32_e32 v11, 63, v38
	v_mad_u64_u32 v[0:1], null, s10, v38, 0
	v_add_co_u32 v16, s1, s8, v28
	s_delay_alu instid0(VALU_DEP_3) | instskip(SKIP_3) | instid1(VALU_DEP_4)
	v_mad_u64_u32 v[2:3], null, s10, v11, 0
	v_add_nc_u32_e32 v12, 0x7e, v38
	v_add_co_ci_u32_e64 v17, s1, s9, v29, s1
	v_add_nc_u32_e32 v18, 0x13b, v38
	v_mad_u64_u32 v[4:5], null, s11, v38, v[1:2]
	v_mov_b32_e32 v1, v3
	v_mad_u64_u32 v[5:6], null, s10, v12, 0
	v_add_nc_u32_e32 v14, 0xbd, v38
	s_delay_alu instid0(VALU_DEP_3) | instskip(SKIP_1) | instid1(VALU_DEP_3)
	v_mad_u64_u32 v[9:10], null, s11, v11, v[1:2]
	v_mov_b32_e32 v1, v4
	v_mad_u64_u32 v[7:8], null, s10, v14, 0
	v_dual_mov_b32 v4, v6 :: v_dual_add_nc_u32 v15, 0xfc, v38
	s_delay_alu instid0(VALU_DEP_3) | instskip(SKIP_1) | instid1(VALU_DEP_3)
	v_lshlrev_b64 v[0:1], 4, v[0:1]
	v_mov_b32_e32 v3, v9
	v_mad_u64_u32 v[9:10], null, s11, v12, v[4:5]
	v_mov_b32_e32 v4, v8
	v_mad_u64_u32 v[10:11], null, s10, v15, 0
	s_delay_alu instid0(VALU_DEP_4) | instskip(SKIP_1) | instid1(VALU_DEP_4)
	v_lshlrev_b64 v[2:3], 4, v[2:3]
	v_add_co_u32 v0, s1, v16, v0
	v_mad_u64_u32 v[12:13], null, s11, v14, v[4:5]
	v_mad_u64_u32 v[13:14], null, s10, v18, 0
	v_mov_b32_e32 v4, v11
	v_mov_b32_e32 v6, v9
	v_add_co_ci_u32_e64 v1, s1, v17, v1, s1
	v_mov_b32_e32 v8, v12
	s_delay_alu instid0(VALU_DEP_4) | instskip(NEXT) | instid1(VALU_DEP_4)
	v_mad_u64_u32 v[11:12], null, s11, v15, v[4:5]
	v_lshlrev_b64 v[5:6], 4, v[5:6]
	v_mov_b32_e32 v4, v14
	v_add_co_u32 v2, s1, v16, v2
	v_lshlrev_b64 v[7:8], 4, v[7:8]
	v_add_co_ci_u32_e64 v3, s1, v17, v3, s1
	s_delay_alu instid0(VALU_DEP_4)
	v_mad_u64_u32 v[14:15], null, s11, v18, v[4:5]
	v_add_co_u32 v4, s1, v16, v5
	v_lshlrev_b64 v[9:10], 4, v[10:11]
	v_add_co_ci_u32_e64 v5, s1, v17, v6, s1
	v_add_co_u32 v6, s1, v16, v7
	v_lshlrev_b64 v[11:12], 4, v[13:14]
	v_add_co_ci_u32_e64 v7, s1, v17, v8, s1
	v_add_co_u32 v24, s1, v16, v9
	s_delay_alu instid0(VALU_DEP_1) | instskip(NEXT) | instid1(VALU_DEP_4)
	v_add_co_ci_u32_e64 v25, s1, v17, v10, s1
	v_add_co_u32 v26, s1, v16, v11
	s_delay_alu instid0(VALU_DEP_1)
	v_add_co_ci_u32_e64 v27, s1, v17, v12, s1
	s_clause 0x5
	global_load_b128 v[12:15], v[0:1], off
	global_load_b128 v[20:23], v[2:3], off
	;; [unrolled: 1-line block ×6, first 2 shown]
.LBB0_11:
	s_or_b32 exec_lo, exec_lo, s2
	s_waitcnt vmcnt(0)
	v_add_f64 v[24:25], v[2:3], v[18:19]
	v_add_f64 v[26:27], v[0:1], v[16:17]
	v_add_f64 v[30:31], v[16:17], -v[0:1]
	v_add_f64 v[32:33], v[18:19], -v[2:3]
	s_mov_b32 s2, 0xe8584caa
	s_mov_b32 s3, 0xbfebb67a
	;; [unrolled: 1-line block ×4, first 2 shown]
	v_add_f64 v[34:35], v[4:5], v[8:9]
	v_add_f64 v[36:37], v[6:7], v[10:11]
	v_add_f64 v[43:44], v[10:11], -v[6:7]
	v_add_f64 v[10:11], v[10:11], v[14:15]
	v_add_f64 v[16:17], v[16:17], v[20:21]
	;; [unrolled: 1-line block ×3, first 2 shown]
	v_fma_f64 v[24:25], v[24:25], -0.5, v[22:23]
	v_fma_f64 v[26:27], v[26:27], -0.5, v[20:21]
	v_fma_f64 v[20:21], v[34:35], -0.5, v[12:13]
	v_fma_f64 v[22:23], v[36:37], -0.5, v[14:15]
	v_add_f64 v[14:15], v[0:1], v[16:17]
	v_fma_f64 v[39:40], v[30:31], s[6:7], v[24:25]
	v_fma_f64 v[24:25], v[30:31], s[2:3], v[24:25]
	;; [unrolled: 1-line block ×3, first 2 shown]
	v_add_f64 v[30:31], v[8:9], v[12:13]
	v_add_f64 v[8:9], v[8:9], -v[4:5]
	v_fma_f64 v[36:37], v[32:33], s[6:7], v[26:27]
	v_add_f64 v[26:27], v[2:3], v[18:19]
	v_fma_f64 v[16:17], v[43:44], s[2:3], v[20:21]
	v_fma_f64 v[18:19], v[43:44], s[6:7], v[20:21]
	v_mul_f64 v[34:35], v[39:40], s[2:3]
	v_mul_f64 v[45:46], v[24:25], s[2:3]
	;; [unrolled: 1-line block ×3, first 2 shown]
	v_mul_f64 v[49:50], v[24:25], -0.5
	v_add_f64 v[12:13], v[4:5], v[30:31]
	v_add_f64 v[24:25], v[6:7], v[10:11]
	v_fma_f64 v[30:31], v[8:9], s[6:7], v[22:23]
	v_fma_f64 v[32:33], v[8:9], s[2:3], v[22:23]
	v_fma_f64 v[20:21], v[41:42], 0.5, v[34:35]
	v_fma_f64 v[22:23], v[36:37], -0.5, v[45:46]
	v_fma_f64 v[34:35], v[39:40], 0.5, v[47:48]
	v_fma_f64 v[36:37], v[36:37], s[6:7], v[49:50]
	v_add_f64 v[0:1], v[12:13], -v[14:15]
	v_add_f64 v[2:3], v[24:25], -v[26:27]
	;; [unrolled: 1-line block ×6, first 2 shown]
	s_and_saveexec_b32 s1, s0
	s_cbranch_execz .LBB0_13
; %bb.12:
	v_add_f64 v[26:27], v[26:27], v[24:25]
	v_add_f64 v[24:25], v[14:15], v[12:13]
	;; [unrolled: 1-line block ×6, first 2 shown]
	v_mul_u32_u24_e32 v12, 6, v38
	s_delay_alu instid0(VALU_DEP_1)
	v_lshl_add_u32 v12, v12, 4, 0
	ds_store_b128 v12, v[24:27]
	ds_store_b128 v12, v[34:37] offset:16
	ds_store_b128 v12, v[30:33] offset:32
	;; [unrolled: 1-line block ×5, first 2 shown]
.LBB0_13:
	s_or_b32 exec_lo, exec_lo, s1
	v_and_b32_e32 v30, 0xff, v38
	s_waitcnt lgkmcnt(0)
	s_barrier
	buffer_gl0_inv
	v_lshl_add_u32 v24, v38, 4, 0
	v_mul_lo_u16 v12, 0xab, v30
	v_cmp_gt_u32_e64 s0, 54, v38
	s_delay_alu instid0(VALU_DEP_2) | instskip(NEXT) | instid1(VALU_DEP_1)
	v_lshrrev_b16 v27, 10, v12
	v_mul_lo_u16 v12, v27, 6
	s_delay_alu instid0(VALU_DEP_1) | instskip(NEXT) | instid1(VALU_DEP_1)
	v_sub_nc_u16 v12, v38, v12
	v_and_b32_e32 v37, 0xff, v12
	s_delay_alu instid0(VALU_DEP_1)
	v_lshlrev_b32_e32 v16, 5, v37
	s_clause 0x1
	global_load_b128 v[12:15], v16, s[4:5]
	global_load_b128 v[16:19], v16, s[4:5] offset:16
	ds_load_b128 v[20:23], v24 offset:2016
	ds_load_b128 v[31:34], v24 offset:4032
	s_waitcnt vmcnt(1) lgkmcnt(1)
	v_mul_f64 v[25:26], v[22:23], v[14:15]
	s_waitcnt vmcnt(0) lgkmcnt(0)
	v_mul_f64 v[35:36], v[33:34], v[18:19]
	v_mul_f64 v[14:15], v[20:21], v[14:15]
	;; [unrolled: 1-line block ×3, first 2 shown]
	s_delay_alu instid0(VALU_DEP_4) | instskip(NEXT) | instid1(VALU_DEP_4)
	v_fma_f64 v[20:21], v[20:21], v[12:13], v[25:26]
	v_fma_f64 v[25:26], v[31:32], v[16:17], v[35:36]
	s_delay_alu instid0(VALU_DEP_4) | instskip(NEXT) | instid1(VALU_DEP_4)
	v_fma_f64 v[22:23], v[22:23], v[12:13], -v[14:15]
	v_fma_f64 v[16:17], v[33:34], v[16:17], -v[18:19]
	ds_load_b128 v[12:15], v24
	s_waitcnt lgkmcnt(0)
	s_barrier
	buffer_gl0_inv
	v_add_f64 v[33:34], v[12:13], v[20:21]
	v_add_f64 v[18:19], v[20:21], v[25:26]
	v_add_f64 v[39:40], v[20:21], -v[25:26]
	v_add_f64 v[31:32], v[22:23], v[16:17]
	v_add_f64 v[35:36], v[22:23], -v[16:17]
	v_add_f64 v[22:23], v[14:15], v[22:23]
	v_fma_f64 v[18:19], v[18:19], -0.5, v[12:13]
	v_add_f64 v[12:13], v[33:34], v[25:26]
	v_fma_f64 v[31:32], v[31:32], -0.5, v[14:15]
	v_mul_lo_u16 v25, v30, 57
	v_add_f64 v[14:15], v[22:23], v[16:17]
	v_and_b32_e32 v26, 0xffff, v27
	v_lshlrev_b32_e32 v27, 4, v37
	s_delay_alu instid0(VALU_DEP_4) | instskip(NEXT) | instid1(VALU_DEP_3)
	v_lshrrev_b16 v41, 10, v25
	v_mul_u32_u24_e32 v26, 0x120, v26
	s_delay_alu instid0(VALU_DEP_2) | instskip(NEXT) | instid1(VALU_DEP_1)
	v_mul_lo_u16 v25, v41, 18
	v_sub_nc_u16 v25, v38, v25
	s_delay_alu instid0(VALU_DEP_1) | instskip(NEXT) | instid1(VALU_DEP_4)
	v_and_b32_e32 v37, 0xff, v25
	v_add3_u32 v25, 0, v26, v27
	s_delay_alu instid0(VALU_DEP_2)
	v_lshlrev_b32_e32 v26, 5, v37
	v_fma_f64 v[16:17], v[35:36], s[2:3], v[18:19]
	v_fma_f64 v[20:21], v[35:36], s[6:7], v[18:19]
	;; [unrolled: 1-line block ×4, first 2 shown]
	ds_store_b128 v25, v[12:15]
	ds_store_b128 v25, v[16:19] offset:96
	ds_store_b128 v25, v[20:23] offset:192
	s_waitcnt lgkmcnt(0)
	s_barrier
	buffer_gl0_inv
	s_clause 0x1
	global_load_b128 v[12:15], v26, s[4:5] offset:192
	global_load_b128 v[16:19], v26, s[4:5] offset:208
	ds_load_b128 v[20:23], v24 offset:2016
	ds_load_b128 v[31:34], v24 offset:4032
	s_waitcnt vmcnt(1) lgkmcnt(1)
	v_mul_f64 v[25:26], v[22:23], v[14:15]
	s_waitcnt vmcnt(0) lgkmcnt(0)
	v_mul_f64 v[35:36], v[33:34], v[18:19]
	v_mul_f64 v[14:15], v[20:21], v[14:15]
	;; [unrolled: 1-line block ×3, first 2 shown]
	s_delay_alu instid0(VALU_DEP_4) | instskip(NEXT) | instid1(VALU_DEP_4)
	v_fma_f64 v[20:21], v[20:21], v[12:13], v[25:26]
	v_fma_f64 v[25:26], v[31:32], v[16:17], v[35:36]
	s_delay_alu instid0(VALU_DEP_4) | instskip(NEXT) | instid1(VALU_DEP_4)
	v_fma_f64 v[22:23], v[22:23], v[12:13], -v[14:15]
	v_fma_f64 v[16:17], v[33:34], v[16:17], -v[18:19]
	ds_load_b128 v[12:15], v24
	s_waitcnt lgkmcnt(0)
	s_barrier
	buffer_gl0_inv
	v_add_f64 v[33:34], v[12:13], v[20:21]
	v_add_f64 v[18:19], v[20:21], v[25:26]
	v_add_f64 v[39:40], v[20:21], -v[25:26]
	v_add_f64 v[31:32], v[22:23], v[16:17]
	v_add_f64 v[35:36], v[22:23], -v[16:17]
	v_add_f64 v[22:23], v[14:15], v[22:23]
	v_fma_f64 v[18:19], v[18:19], -0.5, v[12:13]
	v_add_f64 v[12:13], v[33:34], v[25:26]
	v_fma_f64 v[31:32], v[31:32], -0.5, v[14:15]
	v_and_b32_e32 v25, 0xffff, v41
	v_add_f64 v[14:15], v[22:23], v[16:17]
	v_lshlrev_b32_e32 v26, 4, v37
	s_delay_alu instid0(VALU_DEP_3) | instskip(NEXT) | instid1(VALU_DEP_1)
	v_mul_u32_u24_e32 v25, 0x360, v25
	v_add3_u32 v25, 0, v25, v26
                                        ; implicit-def: $vgpr26_vgpr27
	v_fma_f64 v[16:17], v[35:36], s[2:3], v[18:19]
	v_fma_f64 v[20:21], v[35:36], s[6:7], v[18:19]
	;; [unrolled: 1-line block ×4, first 2 shown]
	ds_store_b128 v25, v[12:15]
	ds_store_b128 v25, v[16:19] offset:288
	ds_store_b128 v25, v[20:23] offset:576
	s_waitcnt lgkmcnt(0)
	s_barrier
	buffer_gl0_inv
	s_and_saveexec_b32 s1, s0
	s_cbranch_execnz .LBB0_16
; %bb.14:
	s_or_b32 exec_lo, exec_lo, s1
	s_and_b32 s0, vcc_lo, s0
	s_delay_alu instid0(SALU_CYCLE_1)
	s_and_saveexec_b32 s1, s0
	s_cbranch_execnz .LBB0_17
.LBB0_15:
	s_endpgm
.LBB0_16:
	ds_load_b128 v[12:15], v24
	ds_load_b128 v[16:19], v24 offset:864
	ds_load_b128 v[20:23], v24 offset:1728
	;; [unrolled: 1-line block ×6, first 2 shown]
	s_or_b32 exec_lo, exec_lo, s1
	s_and_b32 s0, vcc_lo, s0
	s_delay_alu instid0(SALU_CYCLE_1)
	s_and_saveexec_b32 s1, s0
	s_cbranch_execz .LBB0_15
.LBB0_17:
	v_mul_lo_u16 v30, v30, 19
	s_mov_b32 s2, 0x37e14327
	s_mov_b32 s0, 0xe976ee23
	;; [unrolled: 1-line block ×4, first 2 shown]
	v_lshrrev_b16 v30, 10, v30
	s_mov_b32 s7, 0xbfd5d0dc
	s_mov_b32 s6, 0xb247c609
	;; [unrolled: 1-line block ×4, first 2 shown]
	v_mul_lo_u16 v30, v30, 54
	s_mov_b32 s12, 0xaaaaaaaa
	s_mov_b32 s13, 0xbff2aaaa
	s_delay_alu instid0(VALU_DEP_1) | instskip(NEXT) | instid1(VALU_DEP_1)
	v_sub_nc_u16 v30, v38, v30
	v_and_b32_e32 v30, 0xff, v30
	s_delay_alu instid0(VALU_DEP_1)
	v_mad_u64_u32 v[51:52], null, 0x60, v30, s[4:5]
	s_mov_b32 s4, 0x429ad128
	s_mov_b32 s5, 0xbfebfeb5
	s_clause 0x5
	global_load_b128 v[30:33], v[51:52], off offset:784
	global_load_b128 v[34:37], v[51:52], off offset:832
	;; [unrolled: 1-line block ×6, first 2 shown]
	s_waitcnt vmcnt(5) lgkmcnt(4)
	v_mul_f64 v[55:56], v[20:21], v[32:33]
	s_waitcnt vmcnt(4) lgkmcnt(1)
	v_mul_f64 v[57:58], v[8:9], v[36:37]
	s_waitcnt vmcnt(3)
	v_mul_f64 v[59:60], v[16:17], v[41:42]
	s_waitcnt vmcnt(2) lgkmcnt(0)
	v_mul_f64 v[61:62], v[24:25], v[45:46]
	v_mul_f64 v[32:33], v[22:23], v[32:33]
	;; [unrolled: 1-line block ×5, first 2 shown]
	s_waitcnt vmcnt(1)
	v_mul_f64 v[63:64], v[6:7], v[49:50]
	s_waitcnt vmcnt(0)
	v_mul_f64 v[65:66], v[2:3], v[53:54]
	v_mul_f64 v[53:54], v[0:1], v[53:54]
	;; [unrolled: 1-line block ×3, first 2 shown]
	v_fma_f64 v[22:23], v[22:23], v[30:31], -v[55:56]
	v_fma_f64 v[10:11], v[10:11], v[34:35], -v[57:58]
	;; [unrolled: 1-line block ×4, first 2 shown]
	v_fma_f64 v[20:21], v[20:21], v[30:31], v[32:33]
	v_fma_f64 v[8:9], v[8:9], v[34:35], v[36:37]
	;; [unrolled: 1-line block ×6, first 2 shown]
	v_fma_f64 v[2:3], v[2:3], v[51:52], -v[53:54]
	v_fma_f64 v[6:7], v[6:7], v[47:48], -v[49:50]
	v_add_nc_u32_e32 v63, 0x10e, v38
	v_add_nc_u32_e32 v60, 0x6c, v38
	;; [unrolled: 1-line block ×3, first 2 shown]
	v_add_f64 v[30:31], v[22:23], v[10:11]
	v_add_f64 v[10:11], v[22:23], -v[10:11]
	v_add_f64 v[32:33], v[18:19], v[26:27]
	v_add_f64 v[34:35], v[20:21], v[8:9]
	v_add_f64 v[8:9], v[20:21], -v[8:9]
	v_add_f64 v[36:37], v[16:17], v[24:25]
	v_add_f64 v[39:40], v[4:5], -v[0:1]
	v_add_f64 v[0:1], v[4:5], v[0:1]
	v_add_f64 v[20:21], v[6:7], v[2:3]
	v_add_f64 v[6:7], v[6:7], -v[2:3]
	v_add_f64 v[4:5], v[16:17], -v[24:25]
	;; [unrolled: 1-line block ×3, first 2 shown]
	v_add_f64 v[2:3], v[30:31], v[32:33]
	v_add_f64 v[18:19], v[34:35], v[36:37]
	v_add_f64 v[22:23], v[39:40], -v[8:9]
	v_add_f64 v[41:42], v[36:37], -v[0:1]
	;; [unrolled: 1-line block ×7, first 2 shown]
	v_add_f64 v[8:9], v[39:40], v[8:9]
	v_add_f64 v[39:40], v[4:5], -v[39:40]
	v_add_f64 v[51:52], v[16:17], -v[6:7]
	v_add_f64 v[6:7], v[6:7], v[10:11]
	v_add_f64 v[45:46], v[20:21], v[2:3]
	v_add_f64 v[20:21], v[20:21], -v[30:31]
	v_add_f64 v[30:31], v[30:31], -v[32:33]
	;; [unrolled: 1-line block ×3, first 2 shown]
	v_add_f64 v[18:19], v[0:1], v[18:19]
	v_mul_f64 v[22:23], v[22:23], s[0:1]
	v_mul_f64 v[34:35], v[41:42], s[2:3]
	;; [unrolled: 1-line block ×3, first 2 shown]
	s_mov_b32 s2, 0x36b3c0b5
	v_mul_f64 v[26:27], v[26:27], s[0:1]
	s_mov_b32 s3, 0x3fac98ee
	v_mul_f64 v[36:37], v[43:44], s[4:5]
	v_add_f64 v[4:5], v[8:9], v[4:5]
	s_mov_b32 s0, 0x37c3f68c
	s_mov_b32 s1, 0xbfdc38aa
	v_add_f64 v[6:7], v[6:7], v[16:17]
	v_add_f64 v[2:3], v[14:15], v[45:46]
	v_mul_f64 v[10:11], v[20:21], s[2:3]
	v_mul_f64 v[14:15], v[47:48], s[4:5]
	v_add_f64 v[0:1], v[12:13], v[18:19]
	v_mul_f64 v[12:13], v[49:50], s[2:3]
	v_fma_f64 v[8:9], v[39:40], s[6:7], v[22:23]
	v_fma_f64 v[53:54], v[32:33], s[14:15], -v[34:35]
	v_fma_f64 v[20:21], v[20:21], s[2:3], v[24:25]
	v_fma_f64 v[24:25], v[30:31], s[14:15], -v[24:25]
	v_fma_f64 v[41:42], v[51:52], s[6:7], v[26:27]
	s_mov_b32 s7, 0x3fd5d0dc
	s_mov_b32 s15, 0x3fe77f67
	v_fma_f64 v[22:23], v[43:44], s[4:5], -v[22:23]
	v_fma_f64 v[36:37], v[39:40], s[6:7], -v[36:37]
	;; [unrolled: 1-line block ×3, first 2 shown]
	v_fma_f64 v[16:17], v[49:50], s[2:3], v[34:35]
	v_mad_u64_u32 v[47:48], null, s10, v63, 0
	v_add_nc_u32_e32 v61, 0xa2, v38
	v_mad_u64_u32 v[34:35], null, s10, v60, 0
	v_mad_u64_u32 v[49:50], null, s10, v64, 0
	v_fma_f64 v[39:40], v[45:46], s[12:13], v[2:3]
	v_fma_f64 v[10:11], v[30:31], s[14:15], -v[10:11]
	v_fma_f64 v[14:15], v[51:52], s[6:7], -v[14:15]
	v_mad_u64_u32 v[30:31], null, s10, v38, 0
	v_fma_f64 v[18:19], v[18:19], s[12:13], v[0:1]
	v_fma_f64 v[12:13], v[32:33], s[14:15], -v[12:13]
	v_fma_f64 v[8:9], v[4:5], s[0:1], v[8:9]
	v_fma_f64 v[22:23], v[4:5], s[0:1], v[22:23]
	;; [unrolled: 1-line block ×3, first 2 shown]
	v_add_f64 v[20:21], v[20:21], v[39:40]
	v_add_f64 v[24:25], v[24:25], v[39:40]
	;; [unrolled: 1-line block ×3, first 2 shown]
	v_fma_f64 v[39:40], v[6:7], s[0:1], v[41:42]
	v_fma_f64 v[41:42], v[6:7], s[0:1], v[26:27]
	v_fma_f64 v[55:56], v[6:7], s[0:1], v[14:15]
	v_mov_b32_e32 v6, v48
	v_mad_u64_u32 v[43:44], null, s10, v61, 0
	v_add_nc_u32_e32 v62, 0xd8, v38
	v_add_f64 v[57:58], v[16:17], v[18:19]
	v_add_f64 v[12:13], v[12:13], v[18:19]
	v_mov_b32_e32 v7, v50
	s_delay_alu instid0(VALU_DEP_4) | instskip(SKIP_1) | instid1(VALU_DEP_1)
	v_mad_u64_u32 v[45:46], null, s10, v62, 0
	v_add_nc_u32_e32 v59, 54, v38
	v_mad_u64_u32 v[32:33], null, s10, v59, 0
	s_delay_alu instid0(VALU_DEP_1) | instskip(NEXT) | instid1(VALU_DEP_4)
	v_mad_u64_u32 v[51:52], null, s11, v38, v[31:32]
	v_mov_b32_e32 v38, v46
	v_add_f64 v[52:53], v[53:54], v[18:19]
	s_delay_alu instid0(VALU_DEP_4) | instskip(SKIP_2) | instid1(VALU_DEP_3)
	v_mov_b32_e32 v31, v33
	v_mov_b32_e32 v33, v35
	;; [unrolled: 1-line block ×3, first 2 shown]
	v_mad_u64_u32 v[10:11], null, s11, v59, v[31:32]
	s_delay_alu instid0(VALU_DEP_3) | instskip(NEXT) | instid1(VALU_DEP_3)
	v_mad_u64_u32 v[14:15], null, s11, v60, v[33:34]
	v_mad_u64_u32 v[15:16], null, s11, v61, v[35:36]
	;; [unrolled: 1-line block ×3, first 2 shown]
	v_add_f64 v[26:27], v[20:21], -v[8:9]
	v_mov_b32_e32 v31, v51
	v_mov_b32_e32 v35, v14
	v_add_co_u32 v51, vcc_lo, s8, v28
	v_mov_b32_e32 v44, v15
	v_mov_b32_e32 v46, v16
	v_mad_u64_u32 v[17:18], null, s11, v63, v[6:7]
	v_mad_u64_u32 v[18:19], null, s11, v64, v[7:8]
	v_mov_b32_e32 v33, v10
	v_add_f64 v[10:11], v[4:5], v[24:25]
	v_add_f64 v[14:15], v[36:37], -v[22:23]
	v_add_f64 v[6:7], v[8:9], v[20:21]
	v_mov_b32_e32 v48, v17
	v_add_f64 v[16:17], v[12:13], -v[41:42]
	v_mov_b32_e32 v50, v18
	v_add_f64 v[18:19], v[22:23], v[36:37]
	v_add_f64 v[22:23], v[24:25], -v[4:5]
	v_add_f64 v[24:25], v[39:40], v[57:58]
	v_add_f64 v[12:13], v[41:42], v[12:13]
	v_add_f64 v[4:5], v[57:58], -v[39:40]
	v_add_co_ci_u32_e32 v54, vcc_lo, s9, v29, vcc_lo
	v_add_f64 v[20:21], v[55:56], v[52:53]
	v_add_f64 v[8:9], v[52:53], -v[55:56]
	v_lshlrev_b64 v[28:29], 4, v[30:31]
	v_lshlrev_b64 v[30:31], 4, v[32:33]
	v_lshlrev_b64 v[32:33], 4, v[34:35]
	v_lshlrev_b64 v[34:35], 4, v[43:44]
	v_lshlrev_b64 v[36:37], 4, v[45:46]
	v_lshlrev_b64 v[38:39], 4, v[47:48]
	v_add_co_u32 v28, vcc_lo, v51, v28
	v_add_co_ci_u32_e32 v29, vcc_lo, v54, v29, vcc_lo
	v_add_co_u32 v30, vcc_lo, v51, v30
	v_add_co_ci_u32_e32 v31, vcc_lo, v54, v31, vcc_lo
	;; [unrolled: 2-line block ×4, first 2 shown]
	v_lshlrev_b64 v[40:41], 4, v[49:50]
	v_add_co_u32 v36, vcc_lo, v51, v36
	v_add_co_ci_u32_e32 v37, vcc_lo, v54, v37, vcc_lo
	v_add_co_u32 v38, vcc_lo, v51, v38
	v_add_co_ci_u32_e32 v39, vcc_lo, v54, v39, vcc_lo
	v_add_co_u32 v40, vcc_lo, v51, v40
	v_add_co_ci_u32_e32 v41, vcc_lo, v54, v41, vcc_lo
	s_clause 0x6
	global_store_b128 v[28:29], v[0:3], off
	global_store_b128 v[30:31], v[24:27], off
	global_store_b128 v[32:33], v[20:23], off
	global_store_b128 v[34:35], v[16:19], off
	global_store_b128 v[36:37], v[12:15], off
	global_store_b128 v[38:39], v[8:11], off
	global_store_b128 v[40:41], v[4:7], off
	s_nop 0
	s_sendmsg sendmsg(MSG_DEALLOC_VGPRS)
	s_endpgm
	.section	.rodata,"a",@progbits
	.p2align	6, 0x0
	.amdhsa_kernel fft_rtc_back_len378_factors_6_3_3_7_wgs_126_tpt_126_dp_ip_CI_sbrr_dirReg
		.amdhsa_group_segment_fixed_size 0
		.amdhsa_private_segment_fixed_size 0
		.amdhsa_kernarg_size 88
		.amdhsa_user_sgpr_count 15
		.amdhsa_user_sgpr_dispatch_ptr 0
		.amdhsa_user_sgpr_queue_ptr 0
		.amdhsa_user_sgpr_kernarg_segment_ptr 1
		.amdhsa_user_sgpr_dispatch_id 0
		.amdhsa_user_sgpr_private_segment_size 0
		.amdhsa_wavefront_size32 1
		.amdhsa_uses_dynamic_stack 0
		.amdhsa_enable_private_segment 0
		.amdhsa_system_sgpr_workgroup_id_x 1
		.amdhsa_system_sgpr_workgroup_id_y 0
		.amdhsa_system_sgpr_workgroup_id_z 0
		.amdhsa_system_sgpr_workgroup_info 0
		.amdhsa_system_vgpr_workitem_id 0
		.amdhsa_next_free_vgpr 67
		.amdhsa_next_free_sgpr 23
		.amdhsa_reserve_vcc 1
		.amdhsa_float_round_mode_32 0
		.amdhsa_float_round_mode_16_64 0
		.amdhsa_float_denorm_mode_32 3
		.amdhsa_float_denorm_mode_16_64 3
		.amdhsa_dx10_clamp 1
		.amdhsa_ieee_mode 1
		.amdhsa_fp16_overflow 0
		.amdhsa_workgroup_processor_mode 1
		.amdhsa_memory_ordered 1
		.amdhsa_forward_progress 0
		.amdhsa_shared_vgpr_count 0
		.amdhsa_exception_fp_ieee_invalid_op 0
		.amdhsa_exception_fp_denorm_src 0
		.amdhsa_exception_fp_ieee_div_zero 0
		.amdhsa_exception_fp_ieee_overflow 0
		.amdhsa_exception_fp_ieee_underflow 0
		.amdhsa_exception_fp_ieee_inexact 0
		.amdhsa_exception_int_div_zero 0
	.end_amdhsa_kernel
	.text
.Lfunc_end0:
	.size	fft_rtc_back_len378_factors_6_3_3_7_wgs_126_tpt_126_dp_ip_CI_sbrr_dirReg, .Lfunc_end0-fft_rtc_back_len378_factors_6_3_3_7_wgs_126_tpt_126_dp_ip_CI_sbrr_dirReg
                                        ; -- End function
	.section	.AMDGPU.csdata,"",@progbits
; Kernel info:
; codeLenInByte = 4740
; NumSgprs: 25
; NumVgprs: 67
; ScratchSize: 0
; MemoryBound: 1
; FloatMode: 240
; IeeeMode: 1
; LDSByteSize: 0 bytes/workgroup (compile time only)
; SGPRBlocks: 3
; VGPRBlocks: 8
; NumSGPRsForWavesPerEU: 25
; NumVGPRsForWavesPerEU: 67
; Occupancy: 16
; WaveLimiterHint : 1
; COMPUTE_PGM_RSRC2:SCRATCH_EN: 0
; COMPUTE_PGM_RSRC2:USER_SGPR: 15
; COMPUTE_PGM_RSRC2:TRAP_HANDLER: 0
; COMPUTE_PGM_RSRC2:TGID_X_EN: 1
; COMPUTE_PGM_RSRC2:TGID_Y_EN: 0
; COMPUTE_PGM_RSRC2:TGID_Z_EN: 0
; COMPUTE_PGM_RSRC2:TIDIG_COMP_CNT: 0
	.text
	.p2alignl 7, 3214868480
	.fill 96, 4, 3214868480
	.type	__hip_cuid_7352621e8095d0bf,@object ; @__hip_cuid_7352621e8095d0bf
	.section	.bss,"aw",@nobits
	.globl	__hip_cuid_7352621e8095d0bf
__hip_cuid_7352621e8095d0bf:
	.byte	0                               ; 0x0
	.size	__hip_cuid_7352621e8095d0bf, 1

	.ident	"AMD clang version 19.0.0git (https://github.com/RadeonOpenCompute/llvm-project roc-6.4.0 25133 c7fe45cf4b819c5991fe208aaa96edf142730f1d)"
	.section	".note.GNU-stack","",@progbits
	.addrsig
	.addrsig_sym __hip_cuid_7352621e8095d0bf
	.amdgpu_metadata
---
amdhsa.kernels:
  - .args:
      - .actual_access:  read_only
        .address_space:  global
        .offset:         0
        .size:           8
        .value_kind:     global_buffer
      - .offset:         8
        .size:           8
        .value_kind:     by_value
      - .actual_access:  read_only
        .address_space:  global
        .offset:         16
        .size:           8
        .value_kind:     global_buffer
      - .actual_access:  read_only
        .address_space:  global
        .offset:         24
        .size:           8
        .value_kind:     global_buffer
      - .offset:         32
        .size:           8
        .value_kind:     by_value
      - .actual_access:  read_only
        .address_space:  global
        .offset:         40
        .size:           8
        .value_kind:     global_buffer
      - .actual_access:  read_only
        .address_space:  global
        .offset:         48
        .size:           8
        .value_kind:     global_buffer
      - .offset:         56
        .size:           4
        .value_kind:     by_value
      - .actual_access:  read_only
        .address_space:  global
        .offset:         64
        .size:           8
        .value_kind:     global_buffer
      - .actual_access:  read_only
        .address_space:  global
        .offset:         72
        .size:           8
        .value_kind:     global_buffer
      - .address_space:  global
        .offset:         80
        .size:           8
        .value_kind:     global_buffer
    .group_segment_fixed_size: 0
    .kernarg_segment_align: 8
    .kernarg_segment_size: 88
    .language:       OpenCL C
    .language_version:
      - 2
      - 0
    .max_flat_workgroup_size: 126
    .name:           fft_rtc_back_len378_factors_6_3_3_7_wgs_126_tpt_126_dp_ip_CI_sbrr_dirReg
    .private_segment_fixed_size: 0
    .sgpr_count:     25
    .sgpr_spill_count: 0
    .symbol:         fft_rtc_back_len378_factors_6_3_3_7_wgs_126_tpt_126_dp_ip_CI_sbrr_dirReg.kd
    .uniform_work_group_size: 1
    .uses_dynamic_stack: false
    .vgpr_count:     67
    .vgpr_spill_count: 0
    .wavefront_size: 32
    .workgroup_processor_mode: 1
amdhsa.target:   amdgcn-amd-amdhsa--gfx1100
amdhsa.version:
  - 1
  - 2
...

	.end_amdgpu_metadata
